;; amdgpu-corpus repo=ROCm/rocFFT kind=compiled arch=gfx1201 opt=O3
	.text
	.amdgcn_target "amdgcn-amd-amdhsa--gfx1201"
	.amdhsa_code_object_version 6
	.protected	fft_rtc_back_len1056_factors_2_2_2_2_11_6_wgs_176_tpt_176_halfLds_dp_ip_CI_unitstride_sbrr_dirReg ; -- Begin function fft_rtc_back_len1056_factors_2_2_2_2_11_6_wgs_176_tpt_176_halfLds_dp_ip_CI_unitstride_sbrr_dirReg
	.globl	fft_rtc_back_len1056_factors_2_2_2_2_11_6_wgs_176_tpt_176_halfLds_dp_ip_CI_unitstride_sbrr_dirReg
	.p2align	8
	.type	fft_rtc_back_len1056_factors_2_2_2_2_11_6_wgs_176_tpt_176_halfLds_dp_ip_CI_unitstride_sbrr_dirReg,@function
fft_rtc_back_len1056_factors_2_2_2_2_11_6_wgs_176_tpt_176_halfLds_dp_ip_CI_unitstride_sbrr_dirReg: ; @fft_rtc_back_len1056_factors_2_2_2_2_11_6_wgs_176_tpt_176_halfLds_dp_ip_CI_unitstride_sbrr_dirReg
; %bb.0:
	s_clause 0x2
	s_load_b128 s[4:7], s[0:1], 0x0
	s_load_b64 s[8:9], s[0:1], 0x50
	s_load_b64 s[10:11], s[0:1], 0x18
	v_mul_u32_u24_e32 v1, 0x175, v0
	v_mov_b32_e32 v3, 0
	s_delay_alu instid0(VALU_DEP_2) | instskip(NEXT) | instid1(VALU_DEP_1)
	v_lshrrev_b32_e32 v1, 16, v1
	v_add_nc_u32_e32 v5, ttmp9, v1
	v_mov_b32_e32 v1, 0
	v_mov_b32_e32 v2, 0
	;; [unrolled: 1-line block ×3, first 2 shown]
	s_wait_kmcnt 0x0
	v_cmp_lt_u64_e64 s2, s[6:7], 2
	s_delay_alu instid0(VALU_DEP_1)
	s_and_b32 vcc_lo, exec_lo, s2
	s_cbranch_vccnz .LBB0_8
; %bb.1:
	s_load_b64 s[2:3], s[0:1], 0x10
	v_mov_b32_e32 v1, 0
	v_mov_b32_e32 v2, 0
	s_add_nc_u64 s[12:13], s[10:11], 8
	s_mov_b64 s[14:15], 1
	s_wait_kmcnt 0x0
	s_add_nc_u64 s[16:17], s[2:3], 8
	s_mov_b32 s3, 0
.LBB0_2:                                ; =>This Inner Loop Header: Depth=1
	s_load_b64 s[18:19], s[16:17], 0x0
                                        ; implicit-def: $vgpr7_vgpr8
	s_mov_b32 s2, exec_lo
	s_wait_kmcnt 0x0
	v_or_b32_e32 v4, s19, v6
	s_delay_alu instid0(VALU_DEP_1)
	v_cmpx_ne_u64_e32 0, v[3:4]
	s_wait_alu 0xfffe
	s_xor_b32 s20, exec_lo, s2
	s_cbranch_execz .LBB0_4
; %bb.3:                                ;   in Loop: Header=BB0_2 Depth=1
	s_cvt_f32_u32 s2, s18
	s_cvt_f32_u32 s21, s19
	s_sub_nc_u64 s[24:25], 0, s[18:19]
	s_wait_alu 0xfffe
	s_delay_alu instid0(SALU_CYCLE_1) | instskip(SKIP_1) | instid1(SALU_CYCLE_2)
	s_fmamk_f32 s2, s21, 0x4f800000, s2
	s_wait_alu 0xfffe
	v_s_rcp_f32 s2, s2
	s_delay_alu instid0(TRANS32_DEP_1) | instskip(SKIP_1) | instid1(SALU_CYCLE_2)
	s_mul_f32 s2, s2, 0x5f7ffffc
	s_wait_alu 0xfffe
	s_mul_f32 s21, s2, 0x2f800000
	s_wait_alu 0xfffe
	s_delay_alu instid0(SALU_CYCLE_2) | instskip(SKIP_1) | instid1(SALU_CYCLE_2)
	s_trunc_f32 s21, s21
	s_wait_alu 0xfffe
	s_fmamk_f32 s2, s21, 0xcf800000, s2
	s_cvt_u32_f32 s23, s21
	s_wait_alu 0xfffe
	s_delay_alu instid0(SALU_CYCLE_1) | instskip(SKIP_1) | instid1(SALU_CYCLE_2)
	s_cvt_u32_f32 s22, s2
	s_wait_alu 0xfffe
	s_mul_u64 s[26:27], s[24:25], s[22:23]
	s_wait_alu 0xfffe
	s_mul_hi_u32 s29, s22, s27
	s_mul_i32 s28, s22, s27
	s_mul_hi_u32 s2, s22, s26
	s_mul_i32 s30, s23, s26
	s_wait_alu 0xfffe
	s_add_nc_u64 s[28:29], s[2:3], s[28:29]
	s_mul_hi_u32 s21, s23, s26
	s_mul_hi_u32 s31, s23, s27
	s_add_co_u32 s2, s28, s30
	s_wait_alu 0xfffe
	s_add_co_ci_u32 s2, s29, s21
	s_mul_i32 s26, s23, s27
	s_add_co_ci_u32 s27, s31, 0
	s_wait_alu 0xfffe
	s_add_nc_u64 s[26:27], s[2:3], s[26:27]
	s_wait_alu 0xfffe
	v_add_co_u32 v4, s2, s22, s26
	s_delay_alu instid0(VALU_DEP_1) | instskip(SKIP_1) | instid1(VALU_DEP_1)
	s_cmp_lg_u32 s2, 0
	s_add_co_ci_u32 s23, s23, s27
	v_readfirstlane_b32 s22, v4
	s_wait_alu 0xfffe
	s_delay_alu instid0(VALU_DEP_1)
	s_mul_u64 s[24:25], s[24:25], s[22:23]
	s_wait_alu 0xfffe
	s_mul_hi_u32 s27, s22, s25
	s_mul_i32 s26, s22, s25
	s_mul_hi_u32 s2, s22, s24
	s_mul_i32 s28, s23, s24
	s_wait_alu 0xfffe
	s_add_nc_u64 s[26:27], s[2:3], s[26:27]
	s_mul_hi_u32 s21, s23, s24
	s_mul_hi_u32 s22, s23, s25
	s_wait_alu 0xfffe
	s_add_co_u32 s2, s26, s28
	s_add_co_ci_u32 s2, s27, s21
	s_mul_i32 s24, s23, s25
	s_add_co_ci_u32 s25, s22, 0
	s_wait_alu 0xfffe
	s_add_nc_u64 s[24:25], s[2:3], s[24:25]
	s_wait_alu 0xfffe
	v_add_co_u32 v4, s2, v4, s24
	s_delay_alu instid0(VALU_DEP_1) | instskip(SKIP_1) | instid1(VALU_DEP_1)
	s_cmp_lg_u32 s2, 0
	s_add_co_ci_u32 s2, s23, s25
	v_mul_hi_u32 v13, v5, v4
	s_wait_alu 0xfffe
	v_mad_co_u64_u32 v[7:8], null, v5, s2, 0
	v_mad_co_u64_u32 v[9:10], null, v6, v4, 0
	;; [unrolled: 1-line block ×3, first 2 shown]
	s_delay_alu instid0(VALU_DEP_3) | instskip(SKIP_1) | instid1(VALU_DEP_4)
	v_add_co_u32 v4, vcc_lo, v13, v7
	s_wait_alu 0xfffd
	v_add_co_ci_u32_e32 v7, vcc_lo, 0, v8, vcc_lo
	s_delay_alu instid0(VALU_DEP_2) | instskip(SKIP_1) | instid1(VALU_DEP_2)
	v_add_co_u32 v4, vcc_lo, v4, v9
	s_wait_alu 0xfffd
	v_add_co_ci_u32_e32 v4, vcc_lo, v7, v10, vcc_lo
	s_wait_alu 0xfffd
	v_add_co_ci_u32_e32 v7, vcc_lo, 0, v12, vcc_lo
	s_delay_alu instid0(VALU_DEP_2) | instskip(SKIP_1) | instid1(VALU_DEP_2)
	v_add_co_u32 v4, vcc_lo, v4, v11
	s_wait_alu 0xfffd
	v_add_co_ci_u32_e32 v9, vcc_lo, 0, v7, vcc_lo
	s_delay_alu instid0(VALU_DEP_2) | instskip(SKIP_1) | instid1(VALU_DEP_3)
	v_mul_lo_u32 v10, s19, v4
	v_mad_co_u64_u32 v[7:8], null, s18, v4, 0
	v_mul_lo_u32 v11, s18, v9
	s_delay_alu instid0(VALU_DEP_2) | instskip(NEXT) | instid1(VALU_DEP_2)
	v_sub_co_u32 v7, vcc_lo, v5, v7
	v_add3_u32 v8, v8, v11, v10
	s_delay_alu instid0(VALU_DEP_1) | instskip(SKIP_1) | instid1(VALU_DEP_1)
	v_sub_nc_u32_e32 v10, v6, v8
	s_wait_alu 0xfffd
	v_subrev_co_ci_u32_e64 v10, s2, s19, v10, vcc_lo
	v_add_co_u32 v11, s2, v4, 2
	s_wait_alu 0xf1ff
	v_add_co_ci_u32_e64 v12, s2, 0, v9, s2
	v_sub_co_u32 v13, s2, v7, s18
	v_sub_co_ci_u32_e32 v8, vcc_lo, v6, v8, vcc_lo
	s_wait_alu 0xf1ff
	v_subrev_co_ci_u32_e64 v10, s2, 0, v10, s2
	s_delay_alu instid0(VALU_DEP_3) | instskip(NEXT) | instid1(VALU_DEP_3)
	v_cmp_le_u32_e32 vcc_lo, s18, v13
	v_cmp_eq_u32_e64 s2, s19, v8
	s_wait_alu 0xfffd
	v_cndmask_b32_e64 v13, 0, -1, vcc_lo
	v_cmp_le_u32_e32 vcc_lo, s19, v10
	s_wait_alu 0xfffd
	v_cndmask_b32_e64 v14, 0, -1, vcc_lo
	v_cmp_le_u32_e32 vcc_lo, s18, v7
	;; [unrolled: 3-line block ×3, first 2 shown]
	s_wait_alu 0xfffd
	v_cndmask_b32_e64 v15, 0, -1, vcc_lo
	v_cmp_eq_u32_e32 vcc_lo, s19, v10
	s_wait_alu 0xf1ff
	s_delay_alu instid0(VALU_DEP_2)
	v_cndmask_b32_e64 v7, v15, v7, s2
	s_wait_alu 0xfffd
	v_cndmask_b32_e32 v10, v14, v13, vcc_lo
	v_add_co_u32 v13, vcc_lo, v4, 1
	s_wait_alu 0xfffd
	v_add_co_ci_u32_e32 v14, vcc_lo, 0, v9, vcc_lo
	s_delay_alu instid0(VALU_DEP_3) | instskip(SKIP_2) | instid1(VALU_DEP_3)
	v_cmp_ne_u32_e32 vcc_lo, 0, v10
	s_wait_alu 0xfffd
	v_cndmask_b32_e32 v10, v13, v11, vcc_lo
	v_cndmask_b32_e32 v8, v14, v12, vcc_lo
	v_cmp_ne_u32_e32 vcc_lo, 0, v7
	s_wait_alu 0xfffd
	s_delay_alu instid0(VALU_DEP_2)
	v_dual_cndmask_b32 v7, v4, v10 :: v_dual_cndmask_b32 v8, v9, v8
.LBB0_4:                                ;   in Loop: Header=BB0_2 Depth=1
	s_wait_alu 0xfffe
	s_and_not1_saveexec_b32 s2, s20
	s_cbranch_execz .LBB0_6
; %bb.5:                                ;   in Loop: Header=BB0_2 Depth=1
	v_cvt_f32_u32_e32 v4, s18
	s_sub_co_i32 s20, 0, s18
	s_delay_alu instid0(VALU_DEP_1) | instskip(NEXT) | instid1(TRANS32_DEP_1)
	v_rcp_iflag_f32_e32 v4, v4
	v_mul_f32_e32 v4, 0x4f7ffffe, v4
	s_delay_alu instid0(VALU_DEP_1) | instskip(SKIP_1) | instid1(VALU_DEP_1)
	v_cvt_u32_f32_e32 v4, v4
	s_wait_alu 0xfffe
	v_mul_lo_u32 v7, s20, v4
	s_delay_alu instid0(VALU_DEP_1) | instskip(NEXT) | instid1(VALU_DEP_1)
	v_mul_hi_u32 v7, v4, v7
	v_add_nc_u32_e32 v4, v4, v7
	s_delay_alu instid0(VALU_DEP_1) | instskip(NEXT) | instid1(VALU_DEP_1)
	v_mul_hi_u32 v4, v5, v4
	v_mul_lo_u32 v7, v4, s18
	v_add_nc_u32_e32 v8, 1, v4
	s_delay_alu instid0(VALU_DEP_2) | instskip(NEXT) | instid1(VALU_DEP_1)
	v_sub_nc_u32_e32 v7, v5, v7
	v_subrev_nc_u32_e32 v9, s18, v7
	v_cmp_le_u32_e32 vcc_lo, s18, v7
	s_wait_alu 0xfffd
	s_delay_alu instid0(VALU_DEP_2) | instskip(NEXT) | instid1(VALU_DEP_1)
	v_dual_cndmask_b32 v7, v7, v9 :: v_dual_cndmask_b32 v4, v4, v8
	v_cmp_le_u32_e32 vcc_lo, s18, v7
	s_delay_alu instid0(VALU_DEP_2) | instskip(SKIP_1) | instid1(VALU_DEP_1)
	v_add_nc_u32_e32 v8, 1, v4
	s_wait_alu 0xfffd
	v_dual_cndmask_b32 v7, v4, v8 :: v_dual_mov_b32 v8, v3
.LBB0_6:                                ;   in Loop: Header=BB0_2 Depth=1
	s_wait_alu 0xfffe
	s_or_b32 exec_lo, exec_lo, s2
	s_load_b64 s[20:21], s[12:13], 0x0
	s_delay_alu instid0(VALU_DEP_1)
	v_mul_lo_u32 v4, v8, s18
	v_mul_lo_u32 v11, v7, s19
	v_mad_co_u64_u32 v[9:10], null, v7, s18, 0
	s_add_nc_u64 s[14:15], s[14:15], 1
	s_add_nc_u64 s[12:13], s[12:13], 8
	s_wait_alu 0xfffe
	v_cmp_ge_u64_e64 s2, s[14:15], s[6:7]
	s_add_nc_u64 s[16:17], s[16:17], 8
	s_delay_alu instid0(VALU_DEP_2) | instskip(NEXT) | instid1(VALU_DEP_3)
	v_add3_u32 v4, v10, v11, v4
	v_sub_co_u32 v5, vcc_lo, v5, v9
	s_wait_alu 0xfffd
	s_delay_alu instid0(VALU_DEP_2) | instskip(SKIP_3) | instid1(VALU_DEP_2)
	v_sub_co_ci_u32_e32 v4, vcc_lo, v6, v4, vcc_lo
	s_and_b32 vcc_lo, exec_lo, s2
	s_wait_kmcnt 0x0
	v_mul_lo_u32 v6, s21, v5
	v_mul_lo_u32 v4, s20, v4
	v_mad_co_u64_u32 v[1:2], null, s20, v5, v[1:2]
	s_delay_alu instid0(VALU_DEP_1)
	v_add3_u32 v2, v6, v2, v4
	s_wait_alu 0xfffe
	s_cbranch_vccnz .LBB0_9
; %bb.7:                                ;   in Loop: Header=BB0_2 Depth=1
	v_dual_mov_b32 v5, v7 :: v_dual_mov_b32 v6, v8
	s_branch .LBB0_2
.LBB0_8:
	v_dual_mov_b32 v8, v6 :: v_dual_mov_b32 v7, v5
.LBB0_9:
	s_lshl_b64 s[2:3], s[6:7], 3
	v_mul_hi_u32 v5, 0x1745d18, v0
	s_wait_alu 0xfffe
	s_add_nc_u64 s[2:3], s[10:11], s[2:3]
	v_mov_b32_e32 v46, 0
	s_load_b64 s[2:3], s[2:3], 0x0
	s_load_b64 s[0:1], s[0:1], 0x20
	v_mov_b32_e32 v47, 0
                                        ; implicit-def: $vgpr22_vgpr23
                                        ; implicit-def: $vgpr14_vgpr15
                                        ; implicit-def: $vgpr18_vgpr19
                                        ; implicit-def: $vgpr10_vgpr11
	s_wait_kmcnt 0x0
	v_mul_lo_u32 v3, s2, v8
	v_mul_lo_u32 v4, s3, v7
	v_mad_co_u64_u32 v[1:2], null, s2, v7, v[1:2]
	v_cmp_gt_u64_e32 vcc_lo, s[0:1], v[7:8]
                                        ; implicit-def: $vgpr6_vgpr7
	s_delay_alu instid0(VALU_DEP_2) | instskip(SKIP_1) | instid1(VALU_DEP_2)
	v_add3_u32 v2, v4, v2, v3
	v_mul_u32_u24_e32 v3, 0xb0, v5
	v_lshlrev_b64_e32 v[44:45], 4, v[1:2]
	s_delay_alu instid0(VALU_DEP_2)
	v_sub_nc_u32_e32 v48, v0, v3
                                        ; implicit-def: $vgpr2_vgpr3
	s_and_saveexec_b32 s1, vcc_lo
; %bb.10:
	v_mov_b32_e32 v49, 0
	s_delay_alu instid0(VALU_DEP_3) | instskip(SKIP_2) | instid1(VALU_DEP_3)
	v_add_co_u32 v2, s0, s8, v44
	s_wait_alu 0xf1ff
	v_add_co_ci_u32_e64 v3, s0, s9, v45, s0
	v_lshlrev_b64_e32 v[0:1], 4, v[48:49]
	v_dual_mov_b32 v46, v48 :: v_dual_mov_b32 v47, v49
	s_delay_alu instid0(VALU_DEP_2) | instskip(SKIP_1) | instid1(VALU_DEP_3)
	v_add_co_u32 v20, s0, v2, v0
	s_wait_alu 0xf1ff
	v_add_co_ci_u32_e64 v21, s0, v3, v1, s0
	s_clause 0x5
	global_load_b128 v[0:3], v[20:21], off
	global_load_b128 v[4:7], v[20:21], off offset:2816
	global_load_b128 v[8:11], v[20:21], off offset:8448
	;; [unrolled: 1-line block ×5, first 2 shown]
; %bb.11:
	s_wait_alu 0xfffe
	s_or_b32 exec_lo, exec_lo, s1
	s_wait_loadcnt 0x3
	v_add_f64_e64 v[24:25], v[0:1], -v[8:9]
	v_add_f64_e64 v[10:11], v[2:3], -v[10:11]
	s_wait_loadcnt 0x1
	v_add_f64_e64 v[28:29], v[4:5], -v[16:17]
	v_add_f64_e64 v[32:33], v[6:7], -v[18:19]
	;; [unrolled: 3-line block ×3, first 2 shown]
	v_lshl_add_u32 v50, v48, 4, 0
	v_lshlrev_b32_e32 v49, 3, v48
	v_and_b32_e32 v36, 1, v48
	v_add_nc_u32_e32 v34, 0xb0, v48
	v_add_nc_u32_e32 v35, 0x160, v48
	v_lshlrev_b32_e32 v41, 1, v48
	v_sub_nc_u32_e32 v40, v50, v49
	v_lshlrev_b32_e32 v37, 4, v36
	v_lshlrev_b32_e32 v51, 1, v34
	;; [unrolled: 1-line block ×3, first 2 shown]
	v_and_b32_e32 v53, 7, v48
	v_add_nc_u32_e32 v38, 0xa00, v40
	v_add_nc_u32_e32 v39, 0x1400, v40
	v_cmp_gt_u32_e64 s0, 0x60, v48
                                        ; implicit-def: $vgpr61_vgpr62
	v_fma_f64 v[22:23], v[0:1], 2.0, -v[24:25]
	v_fma_f64 v[8:9], v[2:3], 2.0, -v[10:11]
	;; [unrolled: 1-line block ×6, first 2 shown]
	v_lshl_add_u32 v12, v34, 4, 0
	v_lshl_add_u32 v13, v35, 4, 0
	v_and_b32_e32 v34, 3, v48
	ds_store_b128 v50, v[22:25]
	ds_store_b128 v12, v[26:29]
	;; [unrolled: 1-line block ×3, first 2 shown]
	global_wb scope:SCOPE_SE
	s_wait_dscnt 0x0
	s_barrier_signal -1
	s_barrier_wait -1
	global_inv scope:SCOPE_SE
	ds_load_2addr_b64 v[0:3], v40 offset1:176
	ds_load_2addr_b64 v[4:7], v38 offset0:32 offset1:208
	ds_load_2addr_b64 v[18:21], v39 offset0:64 offset1:240
	global_wb scope:SCOPE_SE
	s_wait_dscnt 0x0
	s_barrier_signal -1
	s_barrier_wait -1
	global_inv scope:SCOPE_SE
	ds_store_b128 v50, v[8:11]
	ds_store_b128 v12, v[30:33]
	;; [unrolled: 1-line block ×3, first 2 shown]
	global_wb scope:SCOPE_SE
	s_wait_dscnt 0x0
	s_barrier_signal -1
	s_barrier_wait -1
	global_inv scope:SCOPE_SE
	global_load_b128 v[8:11], v37, s[4:5]
	ds_load_2addr_b64 v[12:15], v38 offset0:32 offset1:208
	ds_load_2addr_b64 v[22:25], v39 offset0:64 offset1:240
	s_wait_loadcnt_dscnt 0x1
	v_mul_f64_e32 v[16:17], v[14:15], v[10:11]
	v_mul_f64_e32 v[30:31], v[6:7], v[10:11]
	s_wait_dscnt 0x0
	v_mul_f64_e32 v[26:27], v[22:23], v[10:11]
	v_mul_f64_e32 v[32:33], v[18:19], v[10:11]
	;; [unrolled: 1-line block ×4, first 2 shown]
	v_fma_f64 v[16:17], v[6:7], v[8:9], v[16:17]
	v_fma_f64 v[14:15], v[14:15], v[8:9], -v[30:31]
	v_fma_f64 v[18:19], v[18:19], v[8:9], v[26:27]
	v_fma_f64 v[22:23], v[22:23], v[8:9], -v[32:33]
	;; [unrolled: 2-line block ×3, first 2 shown]
	ds_load_2addr_b64 v[6:9], v40 offset1:176
	v_lshlrev_b32_e32 v30, 4, v34
	global_wb scope:SCOPE_SE
	s_wait_dscnt 0x0
	s_barrier_signal -1
	s_barrier_wait -1
	global_inv scope:SCOPE_SE
	v_add_f64_e64 v[16:17], v[0:1], -v[16:17]
	v_add_f64_e64 v[14:15], v[6:7], -v[14:15]
	;; [unrolled: 1-line block ×6, first 2 shown]
	v_fma_f64 v[0:1], v[0:1], 2.0, -v[16:17]
	v_fma_f64 v[26:27], v[6:7], 2.0, -v[14:15]
	v_fma_f64 v[2:3], v[2:3], 2.0, -v[18:19]
	v_fma_f64 v[28:29], v[8:9], 2.0, -v[22:23]
	v_fma_f64 v[4:5], v[4:5], 2.0, -v[20:21]
	v_fma_f64 v[12:13], v[12:13], 2.0, -v[24:25]
	v_and_or_b32 v6, 0x1fc, v41, v36
	v_and_or_b32 v7, 0x3fc, v51, v36
	;; [unrolled: 1-line block ×3, first 2 shown]
	s_delay_alu instid0(VALU_DEP_3) | instskip(NEXT) | instid1(VALU_DEP_3)
	v_lshl_add_u32 v31, v6, 3, 0
	v_lshl_add_u32 v32, v7, 3, 0
	s_delay_alu instid0(VALU_DEP_3)
	v_lshl_add_u32 v33, v8, 3, 0
	ds_store_2addr_b64 v31, v[0:1], v[16:17] offset1:2
	ds_store_2addr_b64 v32, v[2:3], v[18:19] offset1:2
	;; [unrolled: 1-line block ×3, first 2 shown]
	global_wb scope:SCOPE_SE
	s_wait_dscnt 0x0
	s_barrier_signal -1
	s_barrier_wait -1
	global_inv scope:SCOPE_SE
	ds_load_2addr_b64 v[0:3], v40 offset1:176
	ds_load_2addr_b64 v[4:7], v38 offset0:32 offset1:208
	ds_load_2addr_b64 v[8:11], v39 offset0:64 offset1:240
	global_wb scope:SCOPE_SE
	s_wait_dscnt 0x0
	s_barrier_signal -1
	s_barrier_wait -1
	global_inv scope:SCOPE_SE
	ds_store_2addr_b64 v31, v[26:27], v[14:15] offset1:2
	ds_store_2addr_b64 v32, v[28:29], v[22:23] offset1:2
	;; [unrolled: 1-line block ×3, first 2 shown]
	global_wb scope:SCOPE_SE
	s_wait_dscnt 0x0
	s_barrier_signal -1
	s_barrier_wait -1
	global_inv scope:SCOPE_SE
	global_load_b128 v[12:15], v30, s[4:5] offset:32
	ds_load_2addr_b64 v[16:19], v38 offset0:32 offset1:208
	ds_load_2addr_b64 v[20:23], v39 offset0:64 offset1:240
	s_wait_loadcnt_dscnt 0x1
	v_mul_f64_e32 v[24:25], v[18:19], v[14:15]
	v_mul_f64_e32 v[30:31], v[6:7], v[14:15]
	s_wait_dscnt 0x0
	v_mul_f64_e32 v[26:27], v[20:21], v[14:15]
	v_mul_f64_e32 v[32:33], v[8:9], v[14:15]
	;; [unrolled: 1-line block ×4, first 2 shown]
	v_fma_f64 v[24:25], v[6:7], v[12:13], v[24:25]
	v_fma_f64 v[18:19], v[18:19], v[12:13], -v[30:31]
	v_fma_f64 v[26:27], v[8:9], v[12:13], v[26:27]
	v_fma_f64 v[20:21], v[20:21], v[12:13], -v[32:33]
	;; [unrolled: 2-line block ×3, first 2 shown]
	ds_load_2addr_b64 v[6:9], v40 offset1:176
	v_lshlrev_b32_e32 v32, 4, v53
	global_wb scope:SCOPE_SE
	s_wait_dscnt 0x0
	s_barrier_signal -1
	s_barrier_wait -1
	global_inv scope:SCOPE_SE
	v_add_f64_e64 v[14:15], v[0:1], -v[24:25]
	v_add_f64_e64 v[24:25], v[6:7], -v[18:19]
	;; [unrolled: 1-line block ×6, first 2 shown]
	v_and_or_b32 v18, 0x7f8, v52, v34
	s_delay_alu instid0(VALU_DEP_1)
	v_lshl_add_u32 v35, v18, 3, 0
	v_fma_f64 v[0:1], v[0:1], 2.0, -v[14:15]
	v_fma_f64 v[6:7], v[6:7], 2.0, -v[24:25]
	;; [unrolled: 1-line block ×6, first 2 shown]
	v_and_or_b32 v16, 0x1f8, v41, v34
	v_and_or_b32 v17, 0x3f8, v51, v34
	s_delay_alu instid0(VALU_DEP_2) | instskip(NEXT) | instid1(VALU_DEP_2)
	v_lshl_add_u32 v33, v16, 3, 0
	v_lshl_add_u32 v34, v17, 3, 0
	ds_store_2addr_b64 v33, v[0:1], v[14:15] offset1:4
	ds_store_2addr_b64 v34, v[2:3], v[22:23] offset1:4
	;; [unrolled: 1-line block ×3, first 2 shown]
	global_wb scope:SCOPE_SE
	s_wait_dscnt 0x0
	s_barrier_signal -1
	s_barrier_wait -1
	global_inv scope:SCOPE_SE
	ds_load_2addr_b64 v[16:19], v40 offset1:176
	ds_load_2addr_b64 v[28:31], v38 offset0:32 offset1:208
	ds_load_2addr_b64 v[0:3], v39 offset0:64 offset1:240
	global_wb scope:SCOPE_SE
	s_wait_dscnt 0x0
	s_barrier_signal -1
	s_barrier_wait -1
	global_inv scope:SCOPE_SE
	ds_store_2addr_b64 v33, v[6:7], v[24:25] offset1:4
	ds_store_2addr_b64 v34, v[8:9], v[20:21] offset1:4
	;; [unrolled: 1-line block ×3, first 2 shown]
	global_wb scope:SCOPE_SE
	s_wait_dscnt 0x0
	s_barrier_signal -1
	s_barrier_wait -1
	global_inv scope:SCOPE_SE
	global_load_b128 v[32:35], v32, s[4:5] offset:96
	ds_load_2addr_b64 v[24:27], v38 offset0:32 offset1:208
	ds_load_2addr_b64 v[36:39], v39 offset0:64 offset1:240
                                        ; implicit-def: $vgpr22_vgpr23
	s_wait_loadcnt_dscnt 0x1
	v_mul_f64_e32 v[4:5], v[26:27], v[34:35]
	s_wait_dscnt 0x0
	v_mul_f64_e32 v[6:7], v[36:37], v[34:35]
	v_mul_f64_e32 v[8:9], v[38:39], v[34:35]
	s_delay_alu instid0(VALU_DEP_3) | instskip(NEXT) | instid1(VALU_DEP_3)
	v_fma_f64 v[4:5], v[30:31], v[32:33], v[4:5]
	v_fma_f64 v[10:11], v[0:1], v[32:33], v[6:7]
	s_delay_alu instid0(VALU_DEP_3) | instskip(NEXT) | instid1(VALU_DEP_3)
	v_fma_f64 v[8:9], v[2:3], v[32:33], v[8:9]
	v_add_f64_e64 v[6:7], v[16:17], -v[4:5]
	s_delay_alu instid0(VALU_DEP_3) | instskip(NEXT) | instid1(VALU_DEP_3)
	v_add_f64_e64 v[14:15], v[18:19], -v[10:11]
	v_add_f64_e64 v[10:11], v[28:29], -v[8:9]
	s_delay_alu instid0(VALU_DEP_3) | instskip(NEXT) | instid1(VALU_DEP_3)
	v_fma_f64 v[4:5], v[16:17], 2.0, -v[6:7]
	v_fma_f64 v[12:13], v[18:19], 2.0, -v[14:15]
	s_delay_alu instid0(VALU_DEP_3)
	v_fma_f64 v[8:9], v[28:29], 2.0, -v[10:11]
	v_and_or_b32 v16, 0x1f0, v41, v53
	ds_load_2addr_b64 v[40:43], v40 offset1:176
	v_sub_nc_u32_e32 v17, 0, v49
	v_and_or_b32 v18, 0x3f0, v51, v53
	v_and_or_b32 v19, 0x7f0, v52, v53
	v_lshl_add_u32 v49, v16, 3, 0
	global_wb scope:SCOPE_SE
	s_wait_dscnt 0x0
	v_add_nc_u32_e32 v65, v50, v17
	v_lshl_add_u32 v50, v18, 3, 0
	v_lshl_add_u32 v51, v19, 3, 0
	s_barrier_signal -1
	s_barrier_wait -1
	global_inv scope:SCOPE_SE
	ds_store_2addr_b64 v49, v[4:5], v[6:7] offset1:8
	ds_store_2addr_b64 v50, v[12:13], v[14:15] offset1:8
	;; [unrolled: 1-line block ×3, first 2 shown]
	global_wb scope:SCOPE_SE
	s_wait_dscnt 0x0
	s_barrier_signal -1
	s_barrier_wait -1
	global_inv scope:SCOPE_SE
                                        ; implicit-def: $vgpr18_vgpr19
	s_and_saveexec_b32 s1, s0
	s_cbranch_execz .LBB0_13
; %bb.12:
	v_add_nc_u32_e32 v8, 0x400, v65
	v_add_nc_u32_e32 v9, 0x800, v65
	;; [unrolled: 1-line block ×4, first 2 shown]
	ds_load_2addr_b64 v[4:7], v65 offset1:96
	ds_load_2addr_b64 v[12:15], v8 offset0:64 offset1:160
	ds_load_2addr_b64 v[8:11], v9 offset0:128 offset1:224
	;; [unrolled: 1-line block ×3, first 2 shown]
	ds_load_2addr_b64 v[16:19], v17 offset1:96
	ds_load_b64 v[61:62], v65 offset:7680
.LBB0_13:
	s_wait_alu 0xfffe
	s_or_b32 exec_lo, exec_lo, s1
	v_mul_f64_e32 v[28:29], v[30:31], v[34:35]
	v_mul_f64_e32 v[0:1], v[0:1], v[34:35]
	v_mul_f64_e32 v[2:3], v[2:3], v[34:35]
	global_wb scope:SCOPE_SE
	s_wait_dscnt 0x0
	s_barrier_signal -1
	s_barrier_wait -1
	global_inv scope:SCOPE_SE
                                        ; implicit-def: $vgpr63_vgpr64
	v_fma_f64 v[26:27], v[26:27], v[32:33], -v[28:29]
	v_fma_f64 v[0:1], v[36:37], v[32:33], -v[0:1]
	;; [unrolled: 1-line block ×3, first 2 shown]
                                        ; implicit-def: $vgpr38_vgpr39
	s_delay_alu instid0(VALU_DEP_3) | instskip(NEXT) | instid1(VALU_DEP_3)
	v_add_f64_e64 v[2:3], v[40:41], -v[26:27]
	v_add_f64_e64 v[34:35], v[42:43], -v[0:1]
	s_delay_alu instid0(VALU_DEP_3) | instskip(NEXT) | instid1(VALU_DEP_3)
	v_add_f64_e64 v[28:29], v[24:25], -v[28:29]
	v_fma_f64 v[0:1], v[40:41], 2.0, -v[2:3]
	s_delay_alu instid0(VALU_DEP_3) | instskip(NEXT) | instid1(VALU_DEP_3)
	v_fma_f64 v[32:33], v[42:43], 2.0, -v[34:35]
	v_fma_f64 v[24:25], v[24:25], 2.0, -v[28:29]
	ds_store_2addr_b64 v49, v[0:1], v[2:3] offset1:8
	ds_store_2addr_b64 v50, v[32:33], v[34:35] offset1:8
	;; [unrolled: 1-line block ×3, first 2 shown]
	global_wb scope:SCOPE_SE
	s_wait_dscnt 0x0
	s_barrier_signal -1
	s_barrier_wait -1
	global_inv scope:SCOPE_SE
	s_and_saveexec_b32 s1, s0
	s_cbranch_execz .LBB0_15
; %bb.14:
	v_add_nc_u32_e32 v24, 0x400, v65
	v_lshl_add_u32 v25, v48, 3, 0
	v_add_nc_u32_e32 v28, 0xc00, v65
	v_add_nc_u32_e32 v36, 0x100, v65
	ds_load_2addr_b64 v[0:3], v65 offset1:96
	ds_load_2addr_b64 v[32:35], v24 offset0:64 offset1:160
	ds_load_2addr_stride64_b64 v[24:27], v25 offset0:6 offset1:12
	ds_load_2addr_b64 v[28:31], v28 offset0:96 offset1:192
	ds_load_2addr_stride64_b64 v[36:39], v36 offset0:10 offset1:13
	ds_load_b64 v[63:64], v65 offset:7680
.LBB0_15:
	s_wait_alu 0xfffe
	s_or_b32 exec_lo, exec_lo, s1
	v_and_b32_e32 v66, 15, v48
	s_delay_alu instid0(VALU_DEP_1) | instskip(NEXT) | instid1(VALU_DEP_1)
	v_mul_u32_u24_e32 v40, 10, v66
	v_lshlrev_b32_e32 v49, 4, v40
	s_clause 0x9
	global_load_b128 v[40:43], v49, s[4:5] offset:240
	global_load_b128 v[53:56], v49, s[4:5] offset:256
	;; [unrolled: 1-line block ×10, first 2 shown]
	global_wb scope:SCOPE_SE
	s_wait_loadcnt_dscnt 0x0
	s_barrier_signal -1
	s_barrier_wait -1
	global_inv scope:SCOPE_SE
	v_mul_f64_e32 v[49:50], v[32:33], v[42:43]
	v_mul_f64_e32 v[42:43], v[12:13], v[42:43]
	;; [unrolled: 1-line block ×20, first 2 shown]
	v_fma_f64 v[51:52], v[12:13], v[40:41], v[49:50]
	v_fma_f64 v[55:56], v[32:33], v[40:41], -v[42:43]
	v_fma_f64 v[49:50], v[14:15], v[53:54], v[57:58]
	v_fma_f64 v[53:54], v[34:35], v[53:54], -v[59:60]
	;; [unrolled: 2-line block ×5, first 2 shown]
	v_fma_f64 v[30:31], v[30:31], v[79:80], -v[105:106]
	v_fma_f64 v[28:29], v[20:21], v[79:80], v[81:82]
	v_fma_f64 v[40:41], v[22:23], v[83:84], v[107:108]
	v_fma_f64 v[22:23], v[36:37], v[83:84], -v[85:86]
	v_fma_f64 v[36:37], v[16:17], v[87:88], v[109:110]
	v_fma_f64 v[20:21], v[26:27], v[87:88], -v[89:90]
	;; [unrolled: 2-line block ×4, first 2 shown]
	v_lshrrev_b32_e32 v38, 4, v48
	s_and_saveexec_b32 s1, s0
	s_cbranch_execz .LBB0_17
; %bb.16:
	v_add_f64_e32 v[2:3], v[4:5], v[57:58]
	v_add_f64_e64 v[6:7], v[42:43], -v[22:23]
	s_delay_alu instid0(VALU_DEP_4)
	v_add_f64_e64 v[8:9], v[59:60], -v[14:15]
	v_add_f64_e64 v[10:11], v[32:33], -v[30:31]
	;; [unrolled: 1-line block ×3, first 2 shown]
	s_mov_b32 s18, 0xbb3a28a1
	s_mov_b32 s22, 0xfd768dbf
	;; [unrolled: 1-line block ×7, first 2 shown]
	v_add_f64_e64 v[61:62], v[55:56], -v[16:17]
	s_mov_b32 s20, 0xf8bb580b
	s_mov_b32 s15, 0xbfefac9e
	;; [unrolled: 1-line block ×3, first 2 shown]
	v_add_f64_e32 v[63:64], v[57:58], v[26:27]
	s_mov_b32 s25, 0xbfe14ced
	s_wait_alu 0xfffe
	s_mov_b32 s24, s20
	s_mov_b32 s2, 0x7f775887
	;; [unrolled: 1-line block ×13, first 2 shown]
	v_add_f64_e32 v[81:82], v[51:52], v[18:19]
	v_add_f64_e32 v[2:3], v[2:3], v[51:52]
	v_mul_f64_e32 v[67:68], s[16:17], v[6:7]
	v_mul_f64_e32 v[69:70], s[22:23], v[8:9]
	;; [unrolled: 1-line block ×5, first 2 shown]
	s_mov_b32 s17, 0xbfed1bb4
	v_mul_f64_e32 v[77:78], s[14:15], v[8:9]
	s_wait_alu 0xfffe
	v_mul_f64_e32 v[79:80], s[24:25], v[8:9]
	v_mul_f64_e32 v[8:9], s[16:17], v[8:9]
	;; [unrolled: 1-line block ×9, first 2 shown]
	s_mov_b32 s16, 0x8764f0ba
	s_mov_b32 s17, 0x3feaeb8c
	v_mul_f64_e32 v[105:106], s[28:29], v[12:13]
	v_mul_f64_e32 v[12:13], s[14:15], v[12:13]
	;; [unrolled: 1-line block ×4, first 2 shown]
	v_add_f64_e32 v[2:3], v[2:3], v[49:50]
	v_fma_f64 v[91:92], v[63:64], s[12:13], -v[69:70]
	v_fma_f64 v[69:70], v[63:64], s[12:13], v[69:70]
	v_fma_f64 v[93:94], v[63:64], s[2:3], -v[73:74]
	v_fma_f64 v[73:74], v[63:64], s[2:3], v[73:74]
	;; [unrolled: 2-line block ×3, first 2 shown]
	s_wait_alu 0xfffe
	v_fma_f64 v[97:98], v[63:64], s[16:17], v[79:80]
	v_fma_f64 v[99:100], v[63:64], s[6:7], v[8:9]
	v_fma_f64 v[8:9], v[63:64], s[6:7], -v[8:9]
	v_fma_f64 v[63:64], v[63:64], s[16:17], -v[79:80]
	v_add_f64_e32 v[79:80], v[49:50], v[36:37]
	v_fma_f64 v[107:108], v[81:82], s[16:17], -v[83:84]
	v_fma_f64 v[83:84], v[81:82], s[16:17], v[83:84]
	v_fma_f64 v[109:110], v[81:82], s[10:11], -v[85:86]
	v_fma_f64 v[85:86], v[81:82], s[10:11], v[85:86]
	;; [unrolled: 2-line block ×5, first 2 shown]
	v_add_f64_e32 v[2:3], v[2:3], v[34:35]
	v_add_f64_e32 v[81:82], v[4:5], v[91:92]
	;; [unrolled: 1-line block ×12, first 2 shown]
	v_mul_f64_e32 v[99:100], s[22:23], v[6:7]
	v_mul_f64_e32 v[6:7], s[18:19], v[6:7]
	v_fma_f64 v[121:122], v[79:80], s[2:3], -v[101:102]
	v_fma_f64 v[101:102], v[79:80], s[2:3], v[101:102]
	v_fma_f64 v[123:124], v[79:80], s[16:17], -v[103:104]
	v_fma_f64 v[103:104], v[79:80], s[16:17], v[103:104]
	v_fma_f64 v[125:126], v[79:80], s[6:7], -v[75:76]
	v_fma_f64 v[75:76], v[79:80], s[6:7], v[75:76]
	v_fma_f64 v[127:128], v[79:80], s[12:13], -v[105:106]
	v_fma_f64 v[105:106], v[79:80], s[12:13], v[105:106]
	v_fma_f64 v[129:130], v[79:80], s[10:11], -v[12:13]
	v_fma_f64 v[12:13], v[79:80], s[10:11], v[12:13]
	v_add_f64_e32 v[2:3], v[2:3], v[24:25]
	v_add_f64_e32 v[79:80], v[107:108], v[81:82]
	v_add_f64_e32 v[69:70], v[83:84], v[69:70]
	v_add_f64_e32 v[81:82], v[109:110], v[91:92]
	v_add_f64_e32 v[73:74], v[85:86], v[73:74]
	v_mul_f64_e32 v[91:92], s[18:19], v[10:11]
	v_add_f64_e32 v[83:84], v[111:112], v[93:94]
	v_add_f64_e32 v[77:78], v[87:88], v[77:78]
	;; [unrolled: 1-line block ×7, first 2 shown]
	v_mul_f64_e32 v[89:90], s[14:15], v[10:11]
	v_fma_f64 v[95:96], v[63:64], s[6:7], -v[67:68]
	v_fma_f64 v[67:68], v[63:64], s[6:7], v[67:68]
	v_fma_f64 v[97:98], v[63:64], s[12:13], -v[99:100]
	v_fma_f64 v[99:100], v[63:64], s[12:13], v[99:100]
	;; [unrolled: 2-line block ×5, first 2 shown]
	v_mul_f64_e32 v[93:94], s[20:21], v[10:11]
	v_mul_f64_e32 v[10:11], s[22:23], v[10:11]
	v_add_f64_e32 v[2:3], v[2:3], v[28:29]
	v_add_f64_e32 v[63:64], v[121:122], v[79:80]
	;; [unrolled: 1-line block ×11, first 2 shown]
	v_fma_f64 v[85:86], v[87:88], s[6:7], -v[71:72]
	v_fma_f64 v[77:78], v[87:88], s[10:11], -v[89:90]
	v_fma_f64 v[83:84], v[87:88], s[10:11], v[89:90]
	v_fma_f64 v[71:72], v[87:88], s[6:7], v[71:72]
	v_fma_f64 v[89:90], v[87:88], s[2:3], -v[91:92]
	v_fma_f64 v[91:92], v[87:88], s[2:3], v[91:92]
	v_fma_f64 v[101:102], v[87:88], s[16:17], -v[93:94]
	;; [unrolled: 2-line block ×3, first 2 shown]
	v_fma_f64 v[10:11], v[87:88], s[12:13], v[10:11]
	v_add_f64_e32 v[2:3], v[2:3], v[40:41]
	v_add_f64_e32 v[63:64], v[95:96], v[63:64]
	;; [unrolled: 1-line block ×22, first 2 shown]
	v_mul_u32_u24_e32 v12, 0xb0, v38
	s_delay_alu instid0(VALU_DEP_1) | instskip(NEXT) | instid1(VALU_DEP_1)
	v_or_b32_e32 v12, v12, v66
	v_lshl_add_u32 v12, v12, 3, 0
	v_add_f64_e32 v[2:3], v[2:3], v[18:19]
	s_delay_alu instid0(VALU_DEP_1)
	v_add_f64_e32 v[2:3], v[2:3], v[26:27]
	ds_store_2addr_b64 v12, v[69:70], v[63:64] offset0:64 offset1:80
	ds_store_2addr_b64 v12, v[61:62], v[67:68] offset0:96 offset1:112
	ds_store_2addr_b64 v12, v[10:11], v[73:74] offset0:32 offset1:48
	ds_store_2addr_b64 v12, v[71:72], v[8:9] offset0:128 offset1:144
	ds_store_2addr_b64 v12, v[2:3], v[6:7] offset1:16
	ds_store_b64 v12, v[4:5] offset:1280
.LBB0_17:
	s_wait_alu 0xfffe
	s_or_b32 exec_lo, exec_lo, s1
	v_add_nc_u32_e32 v6, 0xa00, v65
	v_add_nc_u32_e32 v10, 0x1400, v65
	global_wb scope:SCOPE_SE
	s_wait_dscnt 0x0
	s_barrier_signal -1
	s_barrier_wait -1
	global_inv scope:SCOPE_SE
	ds_load_2addr_b64 v[2:5], v65 offset1:176
	ds_load_2addr_b64 v[6:9], v6 offset0:32 offset1:208
	ds_load_2addr_b64 v[10:13], v10 offset0:64 offset1:240
	global_wb scope:SCOPE_SE
	s_wait_dscnt 0x0
	s_barrier_signal -1
	s_barrier_wait -1
	global_inv scope:SCOPE_SE
	s_and_saveexec_b32 s33, s0
	s_cbranch_execz .LBB0_19
; %bb.18:
	v_add_f64_e32 v[61:62], v[0:1], v[59:60]
	v_add_f64_e32 v[59:60], v[59:60], v[14:15]
	s_mov_b32 s26, 0x8764f0ba
	s_mov_b32 s22, 0xd9c712b6
	;; [unrolled: 1-line block ×10, first 2 shown]
	v_add_f64_e64 v[26:27], v[57:58], -v[26:27]
	s_mov_b32 s10, 0xf8bb580b
	s_mov_b32 s0, 0x8eee2c13
	;; [unrolled: 1-line block ×9, first 2 shown]
	s_wait_alu 0xfffe
	s_mov_b32 s12, s0
	s_mov_b32 s17, 0x3fe82f19
	;; [unrolled: 1-line block ×6, first 2 shown]
	v_add_f64_e64 v[18:19], v[51:52], -v[18:19]
	s_mov_b32 s30, s28
	s_mov_b32 s3, 0xbfefac9e
	;; [unrolled: 1-line block ×5, first 2 shown]
	v_add_f64_e64 v[36:37], v[49:50], -v[36:37]
	v_add_f64_e64 v[24:25], v[24:25], -v[28:29]
	v_add_f64_e32 v[61:62], v[61:62], v[55:56]
	v_add_f64_e32 v[55:56], v[55:56], v[16:17]
	v_mul_f64_e32 v[57:58], s[26:27], v[59:60]
	v_mul_f64_e32 v[63:64], s[22:23], v[59:60]
	;; [unrolled: 1-line block ×5, first 2 shown]
	v_add_f64_e32 v[61:62], v[61:62], v[53:54]
	v_add_f64_e32 v[53:54], v[53:54], v[20:21]
	v_mul_f64_e32 v[51:52], s[22:23], v[55:56]
	v_mul_f64_e32 v[71:72], s[24:25], v[55:56]
	;; [unrolled: 1-line block ×5, first 2 shown]
	v_fma_f64 v[77:78], v[26:27], s[10:11], v[57:58]
	v_fma_f64 v[79:80], v[26:27], s[0:1], v[63:64]
	s_wait_alu 0xfffe
	v_fma_f64 v[63:64], v[26:27], s[12:13], v[63:64]
	v_fma_f64 v[81:82], v[26:27], s[6:7], v[67:68]
	;; [unrolled: 1-line block ×8, first 2 shown]
	v_add_f64_e32 v[61:62], v[61:62], v[42:43]
	v_add_f64_e32 v[42:43], v[42:43], v[22:23]
	v_mul_f64_e32 v[49:50], s[20:21], v[53:54]
	v_mul_f64_e32 v[57:58], s[34:35], v[53:54]
	;; [unrolled: 1-line block ×5, first 2 shown]
	v_fma_f64 v[91:92], v[18:19], s[0:1], v[51:52]
	v_fma_f64 v[51:52], v[18:19], s[12:13], v[51:52]
	;; [unrolled: 1-line block ×10, first 2 shown]
	v_add_f64_e32 v[55:56], v[0:1], v[77:78]
	v_add_f64_e32 v[77:78], v[0:1], v[79:80]
	;; [unrolled: 1-line block ×10, first 2 shown]
	v_add_f64_e64 v[26:27], v[34:35], -v[40:41]
	v_add_f64_e32 v[61:62], v[61:62], v[32:33]
	v_mul_f64_e32 v[34:35], s[20:21], v[42:43]
	v_mul_f64_e32 v[39:40], s[26:27], v[42:43]
	;; [unrolled: 1-line block ×3, first 2 shown]
	v_fma_f64 v[101:102], v[36:37], s[6:7], v[49:50]
	v_fma_f64 v[49:50], v[36:37], s[2:3], v[49:50]
	;; [unrolled: 1-line block ×10, first 2 shown]
	v_add_f64_e32 v[53:54], v[91:92], v[55:56]
	v_add_f64_e32 v[55:56], v[93:94], v[77:78]
	;; [unrolled: 1-line block ×12, first 2 shown]
	v_mul_f64_e32 v[32:33], s[24:25], v[42:43]
	v_mul_f64_e32 v[41:42], s[22:23], v[42:43]
	v_fma_f64 v[79:80], v[26:27], s[2:3], v[34:35]
	v_fma_f64 v[34:35], v[26:27], s[6:7], v[34:35]
	;; [unrolled: 1-line block ×6, first 2 shown]
	v_add_f64_e32 v[69:70], v[89:90], v[69:70]
	v_add_f64_e32 v[18:19], v[36:37], v[18:19]
	;; [unrolled: 1-line block ×5, first 2 shown]
	v_mul_f64_e32 v[28:29], s[34:35], v[30:31]
	v_mul_f64_e32 v[51:52], s[26:27], v[30:31]
	;; [unrolled: 1-line block ×5, first 2 shown]
	v_fma_f64 v[73:74], v[26:27], s[16:17], v[32:33]
	v_fma_f64 v[32:33], v[26:27], s[18:19], v[32:33]
	;; [unrolled: 1-line block ×4, first 2 shown]
	v_add_f64_e32 v[41:42], v[101:102], v[53:54]
	v_add_f64_e32 v[53:54], v[103:104], v[55:56]
	;; [unrolled: 1-line block ×7, first 2 shown]
	v_fma_f64 v[22:23], v[24:25], s[28:29], v[28:29]
	v_fma_f64 v[28:29], v[24:25], s[30:31], v[28:29]
	;; [unrolled: 1-line block ×10, first 2 shown]
	v_add_f64_e32 v[30:31], v[73:74], v[41:42]
	v_add_f64_e32 v[41:42], v[79:80], v[53:54]
	;; [unrolled: 1-line block ×22, first 2 shown]
	v_mul_u32_u24_e32 v16, 0xb0, v38
	s_delay_alu instid0(VALU_DEP_1) | instskip(NEXT) | instid1(VALU_DEP_1)
	v_or_b32_e32 v16, v16, v66
	v_lshl_add_u32 v16, v16, 3, 0
	ds_store_2addr_b64 v16, v[22:23], v[32:33] offset0:32 offset1:48
	ds_store_2addr_b64 v16, v[34:35], v[39:40] offset0:64 offset1:80
	;; [unrolled: 1-line block ×4, first 2 shown]
	ds_store_2addr_b64 v16, v[14:15], v[20:21] offset1:16
	ds_store_b64 v16, v[0:1] offset:1280
.LBB0_19:
	s_or_b32 exec_lo, exec_lo, s33
	global_wb scope:SCOPE_SE
	s_wait_dscnt 0x0
	s_barrier_signal -1
	s_barrier_wait -1
	global_inv scope:SCOPE_SE
	s_and_saveexec_b32 s0, vcc_lo
	s_cbranch_execz .LBB0_21
; %bb.20:
	v_mul_u32_u24_e32 v0, 5, v48
	v_add_nc_u32_e32 v34, 0xa00, v65
	v_add_nc_u32_e32 v38, 0x1400, v65
	s_mov_b32 s0, 0xe8584caa
	s_mov_b32 s1, 0xbfebb67a
	v_lshlrev_b32_e32 v0, 4, v0
	s_mov_b32 s3, 0x3febb67a
	s_wait_alu 0xfffe
	s_mov_b32 s2, s0
	s_clause 0x4
	global_load_b128 v[14:17], v0, s[4:5] offset:2816
	global_load_b128 v[18:21], v0, s[4:5] offset:2848
	;; [unrolled: 1-line block ×5, first 2 shown]
	ds_load_2addr_b64 v[34:37], v34 offset0:32 offset1:208
	ds_load_2addr_b64 v[38:41], v38 offset0:64 offset1:240
	s_wait_loadcnt 0x4
	v_mul_f64_e32 v[0:1], v[8:9], v[16:17]
	s_wait_loadcnt 0x3
	v_mul_f64_e32 v[42:43], v[12:13], v[20:21]
	s_wait_dscnt 0x1
	v_mul_f64_e32 v[16:17], v[36:37], v[16:17]
	s_wait_dscnt 0x0
	v_mul_f64_e32 v[20:21], v[40:41], v[20:21]
	s_wait_loadcnt 0x2
	v_mul_f64_e32 v[48:49], v[4:5], v[24:25]
	s_wait_loadcnt 0x1
	;; [unrolled: 2-line block ×3, first 2 shown]
	v_mul_f64_e32 v[52:53], v[10:11], v[32:33]
	v_mul_f64_e32 v[28:29], v[34:35], v[28:29]
	;; [unrolled: 1-line block ×4, first 2 shown]
	v_fma_f64 v[0:1], v[36:37], v[14:15], -v[0:1]
	v_fma_f64 v[36:37], v[40:41], v[18:19], -v[42:43]
	ds_load_2addr_b64 v[40:43], v65 offset1:176
	v_fma_f64 v[8:9], v[8:9], v[14:15], v[16:17]
	v_fma_f64 v[12:13], v[12:13], v[18:19], v[20:21]
	v_fma_f64 v[18:19], v[34:35], v[26:27], -v[50:51]
	v_fma_f64 v[20:21], v[38:39], v[30:31], -v[52:53]
	v_fma_f64 v[6:7], v[6:7], v[26:27], v[28:29]
	v_fma_f64 v[10:11], v[10:11], v[30:31], v[32:33]
	s_wait_dscnt 0x0
	v_fma_f64 v[14:15], v[42:43], v[22:23], -v[48:49]
	v_fma_f64 v[4:5], v[42:43], v[24:25], v[4:5]
	v_add_f64_e32 v[16:17], v[0:1], v[36:37]
	v_add_f64_e64 v[28:29], v[0:1], -v[36:37]
	v_add_f64_e32 v[22:23], v[8:9], v[12:13]
	v_add_f64_e64 v[24:25], v[8:9], -v[12:13]
	v_add_f64_e32 v[26:27], v[18:19], v[20:21]
	v_add_f64_e32 v[34:35], v[40:41], v[18:19]
	;; [unrolled: 1-line block ×4, first 2 shown]
	v_fma_f64 v[16:17], v[16:17], -0.5, v[14:15]
	v_add_f64_e64 v[14:15], v[18:19], -v[20:21]
	v_fma_f64 v[22:23], v[22:23], -0.5, v[4:5]
	v_add_f64_e32 v[4:5], v[8:9], v[4:5]
	v_fma_f64 v[8:9], v[26:27], -0.5, v[40:41]
	v_add_f64_e32 v[20:21], v[34:35], v[20:21]
	v_fma_f64 v[32:33], v[24:25], s[0:1], v[16:17]
	s_wait_alu 0xfffe
	v_fma_f64 v[16:17], v[24:25], s[2:3], v[16:17]
	v_add_f64_e64 v[24:25], v[6:7], -v[10:11]
	v_add_f64_e32 v[6:7], v[2:3], v[6:7]
	v_fma_f64 v[2:3], v[30:31], -0.5, v[2:3]
	v_fma_f64 v[18:19], v[28:29], s[2:3], v[22:23]
	v_fma_f64 v[22:23], v[28:29], s[0:1], v[22:23]
	v_add_f64_e32 v[4:5], v[12:13], v[4:5]
	v_mul_f64_e32 v[26:27], -0.5, v[32:33]
	v_mul_f64_e32 v[28:29], 0.5, v[16:17]
	v_mul_f64_e32 v[16:17], s[0:1], v[16:17]
	v_mul_f64_e32 v[30:31], s[0:1], v[32:33]
	v_add_f64_e32 v[32:33], v[36:37], v[0:1]
	v_add_f64_e32 v[10:11], v[6:7], v[10:11]
	v_fma_f64 v[12:13], v[24:25], s[0:1], v[8:9]
	v_fma_f64 v[8:9], v[24:25], s[2:3], v[8:9]
	;; [unrolled: 1-line block ×6, first 2 shown]
	v_fma_f64 v[36:37], v[22:23], 0.5, v[16:17]
	v_fma_f64 v[30:31], v[18:19], -0.5, v[30:31]
	v_add_f64_e32 v[6:7], v[20:21], v[32:33]
	v_add_f64_e64 v[0:1], v[10:11], -v[4:5]
	v_add_f64_e32 v[4:5], v[10:11], v[4:5]
	v_add_f64_e64 v[2:3], v[20:21], -v[32:33]
	v_add_f64_e64 v[10:11], v[12:13], -v[26:27]
	v_add_f64_e32 v[18:19], v[8:9], v[28:29]
	v_add_f64_e32 v[16:17], v[34:35], v[36:37]
	;; [unrolled: 1-line block ×4, first 2 shown]
	v_add_f64_e64 v[22:23], v[8:9], -v[28:29]
	v_add_f64_e64 v[20:21], v[34:35], -v[36:37]
	;; [unrolled: 1-line block ×3, first 2 shown]
	v_lshlrev_b64_e32 v[24:25], 4, v[46:47]
	v_add_co_u32 v26, vcc_lo, s8, v44
	s_wait_alu 0xfffd
	v_add_co_ci_u32_e32 v27, vcc_lo, s9, v45, vcc_lo
	s_delay_alu instid0(VALU_DEP_2) | instskip(SKIP_1) | instid1(VALU_DEP_2)
	v_add_co_u32 v24, vcc_lo, v26, v24
	s_wait_alu 0xfffd
	v_add_co_ci_u32_e32 v25, vcc_lo, v27, v25, vcc_lo
	s_clause 0x5
	global_store_b128 v[24:25], v[4:7], off
	global_store_b128 v[24:25], v[16:19], off offset:2816
	global_store_b128 v[24:25], v[12:15], off offset:5632
	global_store_b128 v[24:25], v[0:3], off offset:8448
	global_store_b128 v[24:25], v[20:23], off offset:11264
	global_store_b128 v[24:25], v[8:11], off offset:14080
.LBB0_21:
	s_nop 0
	s_sendmsg sendmsg(MSG_DEALLOC_VGPRS)
	s_endpgm
	.section	.rodata,"a",@progbits
	.p2align	6, 0x0
	.amdhsa_kernel fft_rtc_back_len1056_factors_2_2_2_2_11_6_wgs_176_tpt_176_halfLds_dp_ip_CI_unitstride_sbrr_dirReg
		.amdhsa_group_segment_fixed_size 0
		.amdhsa_private_segment_fixed_size 0
		.amdhsa_kernarg_size 88
		.amdhsa_user_sgpr_count 2
		.amdhsa_user_sgpr_dispatch_ptr 0
		.amdhsa_user_sgpr_queue_ptr 0
		.amdhsa_user_sgpr_kernarg_segment_ptr 1
		.amdhsa_user_sgpr_dispatch_id 0
		.amdhsa_user_sgpr_private_segment_size 0
		.amdhsa_wavefront_size32 1
		.amdhsa_uses_dynamic_stack 0
		.amdhsa_enable_private_segment 0
		.amdhsa_system_sgpr_workgroup_id_x 1
		.amdhsa_system_sgpr_workgroup_id_y 0
		.amdhsa_system_sgpr_workgroup_id_z 0
		.amdhsa_system_sgpr_workgroup_info 0
		.amdhsa_system_vgpr_workitem_id 0
		.amdhsa_next_free_vgpr 131
		.amdhsa_next_free_sgpr 36
		.amdhsa_reserve_vcc 1
		.amdhsa_float_round_mode_32 0
		.amdhsa_float_round_mode_16_64 0
		.amdhsa_float_denorm_mode_32 3
		.amdhsa_float_denorm_mode_16_64 3
		.amdhsa_fp16_overflow 0
		.amdhsa_workgroup_processor_mode 1
		.amdhsa_memory_ordered 1
		.amdhsa_forward_progress 0
		.amdhsa_round_robin_scheduling 0
		.amdhsa_exception_fp_ieee_invalid_op 0
		.amdhsa_exception_fp_denorm_src 0
		.amdhsa_exception_fp_ieee_div_zero 0
		.amdhsa_exception_fp_ieee_overflow 0
		.amdhsa_exception_fp_ieee_underflow 0
		.amdhsa_exception_fp_ieee_inexact 0
		.amdhsa_exception_int_div_zero 0
	.end_amdhsa_kernel
	.text
.Lfunc_end0:
	.size	fft_rtc_back_len1056_factors_2_2_2_2_11_6_wgs_176_tpt_176_halfLds_dp_ip_CI_unitstride_sbrr_dirReg, .Lfunc_end0-fft_rtc_back_len1056_factors_2_2_2_2_11_6_wgs_176_tpt_176_halfLds_dp_ip_CI_unitstride_sbrr_dirReg
                                        ; -- End function
	.section	.AMDGPU.csdata,"",@progbits
; Kernel info:
; codeLenInByte = 7044
; NumSgprs: 38
; NumVgprs: 131
; ScratchSize: 0
; MemoryBound: 1
; FloatMode: 240
; IeeeMode: 1
; LDSByteSize: 0 bytes/workgroup (compile time only)
; SGPRBlocks: 4
; VGPRBlocks: 16
; NumSGPRsForWavesPerEU: 38
; NumVGPRsForWavesPerEU: 131
; Occupancy: 10
; WaveLimiterHint : 1
; COMPUTE_PGM_RSRC2:SCRATCH_EN: 0
; COMPUTE_PGM_RSRC2:USER_SGPR: 2
; COMPUTE_PGM_RSRC2:TRAP_HANDLER: 0
; COMPUTE_PGM_RSRC2:TGID_X_EN: 1
; COMPUTE_PGM_RSRC2:TGID_Y_EN: 0
; COMPUTE_PGM_RSRC2:TGID_Z_EN: 0
; COMPUTE_PGM_RSRC2:TIDIG_COMP_CNT: 0
	.text
	.p2alignl 7, 3214868480
	.fill 96, 4, 3214868480
	.type	__hip_cuid_9beb95d998564e1c,@object ; @__hip_cuid_9beb95d998564e1c
	.section	.bss,"aw",@nobits
	.globl	__hip_cuid_9beb95d998564e1c
__hip_cuid_9beb95d998564e1c:
	.byte	0                               ; 0x0
	.size	__hip_cuid_9beb95d998564e1c, 1

	.ident	"AMD clang version 19.0.0git (https://github.com/RadeonOpenCompute/llvm-project roc-6.4.0 25133 c7fe45cf4b819c5991fe208aaa96edf142730f1d)"
	.section	".note.GNU-stack","",@progbits
	.addrsig
	.addrsig_sym __hip_cuid_9beb95d998564e1c
	.amdgpu_metadata
---
amdhsa.kernels:
  - .args:
      - .actual_access:  read_only
        .address_space:  global
        .offset:         0
        .size:           8
        .value_kind:     global_buffer
      - .offset:         8
        .size:           8
        .value_kind:     by_value
      - .actual_access:  read_only
        .address_space:  global
        .offset:         16
        .size:           8
        .value_kind:     global_buffer
      - .actual_access:  read_only
        .address_space:  global
        .offset:         24
        .size:           8
        .value_kind:     global_buffer
      - .offset:         32
        .size:           8
        .value_kind:     by_value
      - .actual_access:  read_only
        .address_space:  global
        .offset:         40
        .size:           8
        .value_kind:     global_buffer
      - .actual_access:  read_only
        .address_space:  global
        .offset:         48
        .size:           8
        .value_kind:     global_buffer
      - .offset:         56
        .size:           4
        .value_kind:     by_value
      - .actual_access:  read_only
        .address_space:  global
        .offset:         64
        .size:           8
        .value_kind:     global_buffer
      - .actual_access:  read_only
        .address_space:  global
        .offset:         72
        .size:           8
        .value_kind:     global_buffer
      - .address_space:  global
        .offset:         80
        .size:           8
        .value_kind:     global_buffer
    .group_segment_fixed_size: 0
    .kernarg_segment_align: 8
    .kernarg_segment_size: 88
    .language:       OpenCL C
    .language_version:
      - 2
      - 0
    .max_flat_workgroup_size: 176
    .name:           fft_rtc_back_len1056_factors_2_2_2_2_11_6_wgs_176_tpt_176_halfLds_dp_ip_CI_unitstride_sbrr_dirReg
    .private_segment_fixed_size: 0
    .sgpr_count:     38
    .sgpr_spill_count: 0
    .symbol:         fft_rtc_back_len1056_factors_2_2_2_2_11_6_wgs_176_tpt_176_halfLds_dp_ip_CI_unitstride_sbrr_dirReg.kd
    .uniform_work_group_size: 1
    .uses_dynamic_stack: false
    .vgpr_count:     131
    .vgpr_spill_count: 0
    .wavefront_size: 32
    .workgroup_processor_mode: 1
amdhsa.target:   amdgcn-amd-amdhsa--gfx1201
amdhsa.version:
  - 1
  - 2
...

	.end_amdgpu_metadata
